;; amdgpu-corpus repo=ROCm/rocFFT kind=compiled arch=gfx906 opt=O3
	.text
	.amdgcn_target "amdgcn-amd-amdhsa--gfx906"
	.amdhsa_code_object_version 6
	.protected	fft_rtc_back_len280_factors_8_5_7_wgs_392_tpt_56_sp_ip_CI_sbcc_twdbase8_2step_dirReg_intrinsicRead ; -- Begin function fft_rtc_back_len280_factors_8_5_7_wgs_392_tpt_56_sp_ip_CI_sbcc_twdbase8_2step_dirReg_intrinsicRead
	.globl	fft_rtc_back_len280_factors_8_5_7_wgs_392_tpt_56_sp_ip_CI_sbcc_twdbase8_2step_dirReg_intrinsicRead
	.p2align	8
	.type	fft_rtc_back_len280_factors_8_5_7_wgs_392_tpt_56_sp_ip_CI_sbcc_twdbase8_2step_dirReg_intrinsicRead,@function
fft_rtc_back_len280_factors_8_5_7_wgs_392_tpt_56_sp_ip_CI_sbcc_twdbase8_2step_dirReg_intrinsicRead: ; @fft_rtc_back_len280_factors_8_5_7_wgs_392_tpt_56_sp_ip_CI_sbcc_twdbase8_2step_dirReg_intrinsicRead
; %bb.0:
	s_load_dwordx4 s[0:3], s[4:5], 0x18
	s_mov_b32 s7, 0
	s_mov_b64 s[24:25], 0
	s_waitcnt lgkmcnt(0)
	s_load_dwordx2 s[14:15], s[0:1], 0x8
	s_waitcnt lgkmcnt(0)
	s_add_u32 s8, s14, -1
	s_addc_u32 s9, s15, -1
	s_add_u32 s10, 0, 0x92481000
	s_addc_u32 s11, 0, 0x64
	s_mul_hi_u32 s13, s10, -7
	s_add_i32 s11, s11, 0x249248c0
	s_sub_i32 s13, s13, s10
	s_mul_i32 s18, s11, -7
	s_mul_i32 s12, s10, -7
	s_add_i32 s13, s13, s18
	s_mul_hi_u32 s16, s11, s12
	s_mul_i32 s17, s11, s12
	s_mul_i32 s19, s10, s13
	s_mul_hi_u32 s12, s10, s12
	s_mul_hi_u32 s18, s10, s13
	s_add_u32 s12, s12, s19
	s_addc_u32 s18, 0, s18
	s_add_u32 s12, s12, s17
	s_mul_hi_u32 s19, s11, s13
	s_addc_u32 s12, s18, s16
	s_addc_u32 s16, s19, 0
	s_mul_i32 s13, s11, s13
	s_add_u32 s12, s12, s13
	v_mov_b32_e32 v1, s12
	s_addc_u32 s13, 0, s16
	v_add_co_u32_e32 v1, vcc, s10, v1
	s_cmp_lg_u64 vcc, 0
	s_addc_u32 s10, s11, s13
	v_readfirstlane_b32 s13, v1
	s_mul_i32 s12, s8, s10
	s_mul_hi_u32 s16, s8, s13
	s_mul_hi_u32 s11, s8, s10
	s_add_u32 s12, s16, s12
	s_addc_u32 s11, 0, s11
	s_mul_hi_u32 s17, s9, s13
	s_mul_i32 s13, s9, s13
	s_add_u32 s12, s12, s13
	s_mul_hi_u32 s16, s9, s10
	s_addc_u32 s11, s11, s17
	s_addc_u32 s12, s16, 0
	s_mul_i32 s10, s9, s10
	s_add_u32 s10, s11, s10
	s_addc_u32 s11, 0, s12
	s_add_u32 s12, s10, 1
	s_addc_u32 s13, s11, 0
	s_add_u32 s16, s10, 2
	s_mul_i32 s18, s11, 7
	s_mul_hi_u32 s19, s10, 7
	s_addc_u32 s17, s11, 0
	s_add_i32 s19, s19, s18
	s_mul_i32 s18, s10, 7
	v_mov_b32_e32 v1, s18
	v_sub_co_u32_e32 v1, vcc, s8, v1
	s_cmp_lg_u64 vcc, 0
	s_subb_u32 s8, s9, s19
	v_subrev_co_u32_e32 v2, vcc, 7, v1
	s_cmp_lg_u64 vcc, 0
	s_subb_u32 s9, s8, 0
	v_readfirstlane_b32 s18, v2
	s_cmp_gt_u32 s18, 6
	s_cselect_b32 s18, -1, 0
	s_cmp_eq_u32 s9, 0
	s_cselect_b32 s9, s18, -1
	s_cmp_lg_u32 s9, 0
	s_cselect_b32 s9, s16, s12
	s_cselect_b32 s12, s17, s13
	v_readfirstlane_b32 s13, v1
	s_cmp_gt_u32 s13, 6
	s_cselect_b32 s13, -1, 0
	s_cmp_eq_u32 s8, 0
	s_cselect_b32 s8, s13, -1
	s_cmp_lg_u32 s8, 0
	s_cselect_b32 s9, s9, s10
	s_cselect_b32 s8, s12, s11
	s_add_u32 s22, s9, 1
	s_addc_u32 s23, s8, 0
	v_mov_b32_e32 v1, s22
	v_mov_b32_e32 v2, s23
	v_cmp_lt_u64_e32 vcc, s[6:7], v[1:2]
	s_cbranch_vccnz .LBB0_2
; %bb.1:
	v_cvt_f32_u32_e32 v1, s22
	s_sub_i32 s8, 0, s22
	s_mov_b32 s25, s7
	v_rcp_iflag_f32_e32 v1, v1
	v_mul_f32_e32 v1, 0x4f7ffffe, v1
	v_cvt_u32_f32_e32 v1, v1
	v_readfirstlane_b32 s9, v1
	s_mul_i32 s8, s8, s9
	s_mul_hi_u32 s8, s9, s8
	s_add_i32 s9, s9, s8
	s_mul_hi_u32 s8, s6, s9
	s_mul_i32 s10, s8, s22
	s_sub_i32 s10, s6, s10
	s_add_i32 s9, s8, 1
	s_sub_i32 s11, s10, s22
	s_cmp_ge_u32 s10, s22
	s_cselect_b32 s8, s9, s8
	s_cselect_b32 s10, s11, s10
	s_add_i32 s9, s8, 1
	s_cmp_ge_u32 s10, s22
	s_cselect_b32 s24, s9, s8
.LBB0_2:
	s_load_dwordx2 s[12:13], s[4:5], 0x58
	s_load_dwordx4 s[8:11], s[2:3], 0x0
	s_load_dwordx2 s[20:21], s[4:5], 0x0
	s_load_dwordx4 s[16:19], s[4:5], 0x8
	s_mul_i32 s4, s24, s23
	s_mul_hi_u32 s5, s24, s22
	s_add_i32 s5, s5, s4
	s_mul_i32 s4, s24, s22
	s_sub_u32 s38, s6, s4
	s_subb_u32 s4, 0, s5
	s_mul_i32 s4, s4, 7
	s_mul_hi_u32 s33, s38, 7
	s_add_i32 s33, s33, s4
	s_mul_i32 s38, s38, 7
	s_waitcnt lgkmcnt(0)
	s_mul_i32 s4, s10, s33
	s_mul_hi_u32 s5, s10, s38
	s_add_i32 s4, s5, s4
	s_mul_i32 s5, s11, s38
	s_add_i32 s39, s4, s5
	v_cmp_lt_u64_e64 s[4:5], s[18:19], 3
	s_mul_i32 s40, s10, s38
	s_and_b64 vcc, exec, s[4:5]
	s_cbranch_vccnz .LBB0_12
; %bb.3:
	s_add_u32 s4, s2, 16
	s_addc_u32 s5, s3, 0
	s_add_u32 s26, s0, 16
	v_mov_b32_e32 v1, s18
	s_addc_u32 s27, s1, 0
	s_mov_b64 s[28:29], 2
	s_mov_b32 s30, 0
	v_mov_b32_e32 v2, s19
.LBB0_4:                                ; =>This Inner Loop Header: Depth=1
	s_load_dwordx2 s[34:35], s[26:27], 0x0
	s_waitcnt lgkmcnt(0)
	s_or_b64 s[0:1], s[24:25], s[34:35]
	s_mov_b32 s31, s1
	s_cmp_lg_u64 s[30:31], 0
	s_cbranch_scc0 .LBB0_9
; %bb.5:                                ;   in Loop: Header=BB0_4 Depth=1
	v_cvt_f32_u32_e32 v3, s34
	v_cvt_f32_u32_e32 v4, s35
	s_sub_u32 s0, 0, s34
	s_subb_u32 s1, 0, s35
	v_mac_f32_e32 v3, 0x4f800000, v4
	v_rcp_f32_e32 v3, v3
	v_mul_f32_e32 v3, 0x5f7ffffc, v3
	v_mul_f32_e32 v4, 0x2f800000, v3
	v_trunc_f32_e32 v4, v4
	v_mac_f32_e32 v3, 0xcf800000, v4
	v_cvt_u32_f32_e32 v4, v4
	v_cvt_u32_f32_e32 v3, v3
	v_readfirstlane_b32 s31, v4
	v_readfirstlane_b32 s36, v3
	s_mul_i32 s37, s0, s31
	s_mul_hi_u32 s42, s0, s36
	s_mul_i32 s41, s1, s36
	s_add_i32 s37, s42, s37
	s_mul_i32 s43, s0, s36
	s_add_i32 s37, s37, s41
	s_mul_hi_u32 s41, s36, s37
	s_mul_i32 s42, s36, s37
	s_mul_hi_u32 s36, s36, s43
	s_add_u32 s36, s36, s42
	s_addc_u32 s41, 0, s41
	s_mul_hi_u32 s44, s31, s43
	s_mul_i32 s43, s31, s43
	s_add_u32 s36, s36, s43
	s_mul_hi_u32 s42, s31, s37
	s_addc_u32 s36, s41, s44
	s_addc_u32 s41, s42, 0
	s_mul_i32 s37, s31, s37
	s_add_u32 s36, s36, s37
	s_addc_u32 s37, 0, s41
	v_add_co_u32_e32 v3, vcc, s36, v3
	s_cmp_lg_u64 vcc, 0
	s_addc_u32 s31, s31, s37
	v_readfirstlane_b32 s37, v3
	s_mul_i32 s36, s0, s31
	s_mul_hi_u32 s41, s0, s37
	s_add_i32 s36, s41, s36
	s_mul_i32 s1, s1, s37
	s_add_i32 s36, s36, s1
	s_mul_i32 s0, s0, s37
	s_mul_hi_u32 s41, s31, s0
	s_mul_i32 s42, s31, s0
	s_mul_i32 s44, s37, s36
	s_mul_hi_u32 s0, s37, s0
	s_mul_hi_u32 s43, s37, s36
	s_add_u32 s0, s0, s44
	s_addc_u32 s37, 0, s43
	s_add_u32 s0, s0, s42
	s_mul_hi_u32 s1, s31, s36
	s_addc_u32 s0, s37, s41
	s_addc_u32 s1, s1, 0
	s_mul_i32 s36, s31, s36
	s_add_u32 s0, s0, s36
	s_addc_u32 s1, 0, s1
	v_add_co_u32_e32 v3, vcc, s0, v3
	s_cmp_lg_u64 vcc, 0
	s_addc_u32 s0, s31, s1
	v_readfirstlane_b32 s36, v3
	s_mul_i32 s31, s24, s0
	s_mul_hi_u32 s37, s24, s36
	s_mul_hi_u32 s1, s24, s0
	s_add_u32 s31, s37, s31
	s_addc_u32 s1, 0, s1
	s_mul_hi_u32 s41, s25, s36
	s_mul_i32 s36, s25, s36
	s_add_u32 s31, s31, s36
	s_mul_hi_u32 s37, s25, s0
	s_addc_u32 s1, s1, s41
	s_addc_u32 s31, s37, 0
	s_mul_i32 s0, s25, s0
	s_add_u32 s36, s1, s0
	s_addc_u32 s31, 0, s31
	s_mul_i32 s0, s34, s31
	s_mul_hi_u32 s1, s34, s36
	s_add_i32 s0, s1, s0
	s_mul_i32 s1, s35, s36
	s_add_i32 s37, s0, s1
	s_mul_i32 s1, s34, s36
	v_mov_b32_e32 v3, s1
	s_sub_i32 s0, s25, s37
	v_sub_co_u32_e32 v3, vcc, s24, v3
	s_cmp_lg_u64 vcc, 0
	s_subb_u32 s41, s0, s35
	v_subrev_co_u32_e64 v4, s[0:1], s34, v3
	s_cmp_lg_u64 s[0:1], 0
	s_subb_u32 s0, s41, 0
	s_cmp_ge_u32 s0, s35
	v_readfirstlane_b32 s41, v4
	s_cselect_b32 s1, -1, 0
	s_cmp_ge_u32 s41, s34
	s_cselect_b32 s41, -1, 0
	s_cmp_eq_u32 s0, s35
	s_cselect_b32 s0, s41, s1
	s_add_u32 s1, s36, 1
	s_addc_u32 s41, s31, 0
	s_add_u32 s42, s36, 2
	s_addc_u32 s43, s31, 0
	s_cmp_lg_u32 s0, 0
	s_cselect_b32 s0, s42, s1
	s_cselect_b32 s1, s43, s41
	s_cmp_lg_u64 vcc, 0
	s_subb_u32 s37, s25, s37
	s_cmp_ge_u32 s37, s35
	v_readfirstlane_b32 s42, v3
	s_cselect_b32 s41, -1, 0
	s_cmp_ge_u32 s42, s34
	s_cselect_b32 s42, -1, 0
	s_cmp_eq_u32 s37, s35
	s_cselect_b32 s37, s42, s41
	s_cmp_lg_u32 s37, 0
	s_cselect_b32 s1, s1, s31
	s_cselect_b32 s0, s0, s36
	s_cbranch_execnz .LBB0_7
.LBB0_6:                                ;   in Loop: Header=BB0_4 Depth=1
	v_cvt_f32_u32_e32 v3, s34
	s_sub_i32 s0, 0, s34
	v_rcp_iflag_f32_e32 v3, v3
	v_mul_f32_e32 v3, 0x4f7ffffe, v3
	v_cvt_u32_f32_e32 v3, v3
	v_readfirstlane_b32 s1, v3
	s_mul_i32 s0, s0, s1
	s_mul_hi_u32 s0, s1, s0
	s_add_i32 s1, s1, s0
	s_mul_hi_u32 s0, s24, s1
	s_mul_i32 s31, s0, s34
	s_sub_i32 s31, s24, s31
	s_add_i32 s1, s0, 1
	s_sub_i32 s36, s31, s34
	s_cmp_ge_u32 s31, s34
	s_cselect_b32 s0, s1, s0
	s_cselect_b32 s31, s36, s31
	s_add_i32 s1, s0, 1
	s_cmp_ge_u32 s31, s34
	s_cselect_b32 s0, s1, s0
	s_mov_b32 s1, s30
.LBB0_7:                                ;   in Loop: Header=BB0_4 Depth=1
	s_mul_i32 s23, s34, s23
	s_mul_hi_u32 s31, s34, s22
	s_add_i32 s23, s31, s23
	s_mul_i32 s31, s35, s22
	s_add_i32 s23, s23, s31
	s_mul_i32 s31, s0, s35
	s_mul_hi_u32 s35, s0, s34
	s_load_dwordx2 s[36:37], s[4:5], 0x0
	s_add_i32 s31, s35, s31
	s_mul_i32 s35, s1, s34
	s_mul_i32 s22, s34, s22
	s_add_i32 s31, s31, s35
	s_mul_i32 s34, s0, s34
	s_sub_u32 s24, s24, s34
	s_subb_u32 s25, s25, s31
	s_waitcnt lgkmcnt(0)
	s_mul_i32 s25, s36, s25
	s_mul_hi_u32 s31, s36, s24
	s_add_i32 s25, s31, s25
	s_mul_i32 s31, s37, s24
	s_add_i32 s25, s25, s31
	s_mul_i32 s24, s36, s24
	s_add_u32 s40, s24, s40
	s_addc_u32 s39, s25, s39
	s_add_u32 s28, s28, 1
	s_addc_u32 s29, s29, 0
	;; [unrolled: 2-line block ×3, first 2 shown]
	v_cmp_ge_u64_e32 vcc, s[28:29], v[1:2]
	s_add_u32 s26, s26, 8
	s_addc_u32 s27, s27, 0
	s_cbranch_vccnz .LBB0_10
; %bb.8:                                ;   in Loop: Header=BB0_4 Depth=1
	s_mov_b64 s[24:25], s[0:1]
	s_branch .LBB0_4
.LBB0_9:                                ;   in Loop: Header=BB0_4 Depth=1
                                        ; implicit-def: $sgpr0_sgpr1
	s_branch .LBB0_6
.LBB0_10:
	v_mov_b32_e32 v1, s22
	v_mov_b32_e32 v2, s23
	v_cmp_lt_u64_e32 vcc, s[6:7], v[1:2]
	s_mov_b64 s[24:25], 0
	s_cbranch_vccnz .LBB0_12
; %bb.11:
	v_cvt_f32_u32_e32 v1, s22
	s_sub_i32 s0, 0, s22
	v_rcp_iflag_f32_e32 v1, v1
	v_mul_f32_e32 v1, 0x4f7ffffe, v1
	v_cvt_u32_f32_e32 v1, v1
	v_readfirstlane_b32 s1, v1
	s_mul_i32 s0, s0, s1
	s_mul_hi_u32 s0, s1, s0
	s_add_i32 s1, s1, s0
	s_mul_hi_u32 s0, s6, s1
	s_mul_i32 s4, s0, s22
	s_sub_i32 s4, s6, s4
	s_add_i32 s1, s0, 1
	s_sub_i32 s5, s4, s22
	s_cmp_ge_u32 s4, s22
	s_cselect_b32 s0, s1, s0
	s_cselect_b32 s4, s5, s4
	s_add_i32 s1, s0, 1
	s_cmp_ge_u32 s4, s22
	s_cselect_b32 s24, s1, s0
.LBB0_12:
	s_lshl_b64 s[0:1], s[18:19], 3
	s_add_u32 s0, s2, s0
	s_addc_u32 s1, s3, s1
	s_load_dwordx2 s[0:1], s[0:1], 0x0
	v_mul_u32_u24_e32 v1, 0x2493, v0
	v_lshrrev_b32_e32 v22, 16, v1
	v_mul_lo_u16_e32 v1, 7, v22
	v_sub_u16_e32 v10, v0, v1
	s_waitcnt lgkmcnt(0)
	s_mul_i32 s1, s1, s24
	s_mul_hi_u32 s2, s0, s24
	s_mul_i32 s0, s0, s24
	s_add_i32 s2, s2, s1
	s_add_u32 s6, s0, s40
	s_addc_u32 s7, s2, s39
	v_mov_b32_e32 v1, s33
	v_add_co_u32_e32 v5, vcc, s38, v10
	v_addc_co_u32_e32 v6, vcc, 0, v1, vcc
	s_add_u32 s0, s38, 7
	v_mov_b32_e32 v1, s14
	s_addc_u32 s1, s33, 0
	v_mov_b32_e32 v2, s15
	v_cmp_le_u64_e32 vcc, s[0:1], v[1:2]
	v_mad_u64_u32 v[1:2], s[0:1], s10, v10, 0
	v_mad_u64_u32 v[3:4], s[0:1], s8, v22, 0
	s_movk_i32 s0, 0xf5
	s_movk_i32 s1, 0xf4
	v_cmp_lt_u32_e64 s[2:3], s1, v0
	v_cmp_gt_u32_e64 s[0:1], s0, v0
	v_cndmask_b32_e64 v7, 0, 1, s[0:1]
	v_cmp_gt_u64_e64 s[0:1], s[14:15], v[5:6]
	s_or_b64 s[4:5], s[2:3], vcc
	v_cndmask_b32_e64 v6, 0, 1, s[0:1]
	v_cndmask_b32_e64 v6, v6, v7, s[4:5]
	v_and_b32_e32 v6, 1, v6
	v_add_lshl_u32 v7, v1, v3, 3
	v_cmp_eq_u32_e64 s[4:5], 1, v6
	v_add_u32_e32 v6, 35, v22
	v_cndmask_b32_e64 v15, -1, v7, s[4:5]
	v_mul_lo_u32 v6, s8, v6
	v_add_u32_e32 v7, 0x46, v22
	v_mul_lo_u32 v7, s8, v7
	v_add_u32_e32 v8, 0x8c, v22
	v_add_lshl_u32 v6, v1, v6, 3
	v_cndmask_b32_e64 v16, -1, v6, s[4:5]
	v_add_lshl_u32 v6, v1, v7, 3
	v_add_u32_e32 v7, 0x69, v22
	v_mul_lo_u32 v7, s8, v7
	v_mul_lo_u32 v8, s8, v8
	v_cndmask_b32_e64 v17, -1, v6, s[4:5]
	s_lshl_b32 s10, s6, 3
	v_add_lshl_u32 v6, v1, v7, 3
	v_add_u32_e32 v7, 0xaf, v22
	v_cndmask_b32_e64 v25, -1, v6, s[4:5]
	v_add_lshl_u32 v6, v1, v8, 3
	v_mul_lo_u32 v7, s8, v7
	v_add_u32_e32 v8, 0xd2, v22
	v_mul_lo_u32 v8, s8, v8
	v_cndmask_b32_e64 v13, -1, v6, s[4:5]
	v_add_lshl_u32 v6, v1, v7, 3
	s_mov_b32 s15, 0x20000
	s_mov_b32 s14, -2
	v_cndmask_b32_e64 v14, -1, v6, s[4:5]
	v_add_lshl_u32 v6, v1, v8, 3
	v_cndmask_b32_e64 v18, -1, v6, s[4:5]
	buffer_load_dwordx2 v[6:7], v13, s[12:15], s10 offen
	buffer_load_dwordx2 v[8:9], v14, s[12:15], s10 offen
	;; [unrolled: 1-line block ×3, first 2 shown]
	v_add_u32_e32 v13, 0xf5, v22
	v_mul_lo_u32 v26, s8, v13
	buffer_load_dwordx2 v[13:14], v15, s[12:15], s10 offen
	buffer_load_dwordx2 v[18:19], v16, s[12:15], s10 offen
	;; [unrolled: 1-line block ×4, first 2 shown]
	v_add_lshl_u32 v15, v1, v26, 3
	v_cndmask_b32_e64 v15, -1, v15, s[4:5]
	buffer_load_dwordx2 v[15:16], v15, s[12:15], s10 offen
	s_waitcnt vmcnt(4)
	v_sub_f32_e32 v6, v13, v6
	v_sub_f32_e32 v7, v14, v7
	s_waitcnt vmcnt(2)
	v_sub_f32_e32 v11, v20, v11
	v_sub_f32_e32 v12, v21, v12
	;; [unrolled: 1-line block ×5, first 2 shown]
	v_fma_f32 v26, v7, 2.0, -v27
	s_waitcnt vmcnt(0)
	v_sub_f32_e32 v9, v23, v15
	v_sub_f32_e32 v28, v24, v16
	v_fma_f32 v15, v13, 2.0, -v6
	v_fma_f32 v13, v20, 2.0, -v11
	;; [unrolled: 1-line block ×4, first 2 shown]
	v_add_f32_e32 v24, v6, v12
	v_fma_f32 v25, v6, 2.0, -v24
	v_add_f32_e32 v28, v8, v28
	v_sub_f32_e32 v29, v30, v9
	v_fma_f32 v17, v14, 2.0, -v7
	v_fma_f32 v14, v21, 2.0, -v12
	;; [unrolled: 1-line block ×6, first 2 shown]
	v_mov_b32_e32 v6, v25
	v_mov_b32_e32 v7, v26
	v_sub_f32_e32 v18, v15, v13
	v_sub_f32_e32 v21, v17, v14
	;; [unrolled: 1-line block ×4, first 2 shown]
	v_fmac_f32_e32 v6, 0xbf3504f3, v9
	v_fmac_f32_e32 v7, 0xbf3504f3, v30
	v_mul_u32_u24_e32 v11, 56, v22
	v_mov_b32_e32 v8, v2
	v_mov_b32_e32 v2, v4
	s_and_saveexec_b64 s[4:5], s[2:3]
	s_xor_b64 s[2:3], exec, s[4:5]
; %bb.13:
	v_mul_u32_u24_e32 v11, 56, v22
                                        ; implicit-def: $vgpr15
                                        ; implicit-def: $vgpr17
                                        ; implicit-def: $vgpr16
                                        ; implicit-def: $vgpr19
                                        ; implicit-def: $vgpr24
                                        ; implicit-def: $vgpr27
                                        ; implicit-def: $vgpr25
                                        ; implicit-def: $vgpr26
                                        ; implicit-def: $vgpr28
                                        ; implicit-def: $vgpr29
; %bb.14:
	s_or_saveexec_b64 s[2:3], s[2:3]
	v_mad_u64_u32 v[12:13], s[4:5], s11, v10, v[8:9]
	v_mad_u64_u32 v[13:14], s[4:5], s9, v22, v[2:3]
	v_fmac_f32_e32 v6, 0x3f3504f3, v30
	v_fmac_f32_e32 v7, 0xbf3504f3, v9
	v_add_f32_e32 v8, v18, v23
	v_sub_f32_e32 v9, v21, v20
	v_lshlrev_b32_e32 v2, 3, v10
	s_xor_b64 exec, exec, s[2:3]
	s_cbranch_execz .LBB0_16
; %bb.15:
	v_fma_f32 v4, v17, 2.0, -v21
	v_fma_f32 v10, v19, 2.0, -v23
	v_mov_b32_e32 v31, v27
	v_sub_f32_e32 v17, v4, v10
	v_fmac_f32_e32 v31, 0x3f3504f3, v29
	v_fma_f32 v19, v4, 2.0, -v17
	v_fma_f32 v4, v15, 2.0, -v18
	;; [unrolled: 1-line block ×3, first 2 shown]
	v_fmac_f32_e32 v31, 0xbf3504f3, v28
	v_mov_b32_e32 v30, v24
	v_sub_f32_e32 v16, v4, v10
	v_fma_f32 v33, v27, 2.0, -v31
	v_fmac_f32_e32 v30, 0x3f3504f3, v28
	v_fma_f32 v27, v18, 2.0, -v8
	v_fma_f32 v18, v4, 2.0, -v16
	v_lshlrev_b32_e32 v4, 3, v11
	v_fmac_f32_e32 v30, 0x3f3504f3, v29
	v_fma_f32 v26, v26, 2.0, -v7
	v_fma_f32 v25, v25, 2.0, -v6
	v_add3_u32 v4, 0, v4, v2
	v_fma_f32 v32, v24, 2.0, -v30
	v_fma_f32 v28, v21, 2.0, -v9
	ds_write2_b64 v4, v[18:19], v[25:26] offset1:7
	ds_write2_b64 v4, v[27:28], v[32:33] offset0:14 offset1:21
	ds_write2_b64 v4, v[16:17], v[6:7] offset0:28 offset1:35
	;; [unrolled: 1-line block ×3, first 2 shown]
.LBB0_16:
	s_or_b64 exec, exec, s[2:3]
	v_and_b32_e32 v31, 7, v22
	v_lshlrev_b32_e32 v4, 5, v31
	s_waitcnt lgkmcnt(0)
	s_barrier
	global_load_dwordx4 v[14:17], v4, s[20:21]
	global_load_dwordx4 v[18:21], v4, s[20:21] offset:16
	v_add3_u32 v4, 0, v11, v2
	ds_read2_b32 v[10:11], v4 offset1:1
	ds_read_b64 v[23:24], v4 offset:3136
	ds_read_b64 v[25:26], v4 offset:6272
	;; [unrolled: 1-line block ×4, first 2 shown]
	s_movk_i32 s2, 0x118
	v_cmp_gt_u32_e64 s[2:3], s2, v0
	s_waitcnt vmcnt(0) lgkmcnt(0)
	s_barrier
	v_mul_f32_e32 v32, v15, v24
	v_mul_f32_e32 v15, v15, v23
	;; [unrolled: 1-line block ×6, first 2 shown]
	v_fmac_f32_e32 v32, v14, v23
	v_fma_f32 v14, v14, v24, -v15
	v_mul_f32_e32 v35, v21, v30
	v_mul_f32_e32 v21, v21, v29
	v_fma_f32 v15, v16, v26, -v17
	v_fma_f32 v19, v18, v28, -v19
	v_add_f32_e32 v28, v11, v14
	v_fmac_f32_e32 v33, v16, v25
	v_fmac_f32_e32 v34, v18, v27
	;; [unrolled: 1-line block ×3, first 2 shown]
	v_fma_f32 v23, v20, v30, -v21
	v_sub_f32_e32 v25, v15, v19
	v_add_f32_e32 v29, v15, v19
	v_sub_f32_e32 v36, v14, v15
	v_sub_f32_e32 v38, v15, v14
	v_add_f32_e32 v15, v28, v15
	v_add_f32_e32 v17, v32, v10
	;; [unrolled: 1-line block ×3, first 2 shown]
	v_sub_f32_e32 v24, v14, v23
	v_sub_f32_e32 v18, v32, v33
	;; [unrolled: 1-line block ×3, first 2 shown]
	v_add_f32_e32 v21, v32, v35
	v_add_f32_e32 v14, v14, v23
	;; [unrolled: 1-line block ×3, first 2 shown]
	v_sub_f32_e32 v37, v23, v19
	v_sub_f32_e32 v39, v19, v23
	v_add_f32_e32 v40, v18, v20
	v_fma_f32 v16, -0.5, v16, v10
	v_fma_f32 v10, -0.5, v21, v10
	v_add_f32_e32 v18, v17, v33
	v_fma_f32 v17, -0.5, v29, v11
	v_fmac_f32_e32 v11, -0.5, v14
	v_add_f32_e32 v15, v15, v23
	v_lshrrev_b32_e32 v23, 3, v22
	v_sub_f32_e32 v26, v33, v32
	v_sub_f32_e32 v30, v32, v35
	;; [unrolled: 1-line block ×3, first 2 shown]
	v_add_f32_e32 v14, v18, v34
	v_mov_b32_e32 v18, v16
	v_mov_b32_e32 v20, v10
	v_mov_b32_e32 v19, v17
	v_mov_b32_e32 v21, v11
	v_mul_u32_u24_e32 v23, 40, v23
	v_sub_f32_e32 v27, v34, v35
	v_fmac_f32_e32 v16, 0x3f737871, v24
	v_fmac_f32_e32 v10, 0xbf737871, v25
	;; [unrolled: 1-line block ×8, first 2 shown]
	v_or_b32_e32 v23, v23, v31
	v_add_f32_e32 v26, v26, v27
	v_add_f32_e32 v27, v36, v37
	v_add_f32_e32 v28, v38, v39
	v_fmac_f32_e32 v16, 0x3f167918, v25
	v_fmac_f32_e32 v10, 0x3f167918, v24
	;; [unrolled: 1-line block ×8, first 2 shown]
	v_mul_u32_u24_e32 v23, 56, v23
	v_add_f32_e32 v14, v14, v35
	v_fmac_f32_e32 v16, 0x3e9e377a, v40
	v_fmac_f32_e32 v10, 0x3e9e377a, v26
	;; [unrolled: 1-line block ×8, first 2 shown]
	v_add3_u32 v2, 0, v23, v2
	ds_write2_b64 v2, v[14:15], v[18:19] offset1:56
	ds_write2_b64 v2, v[20:21], v[10:11] offset0:112 offset1:168
	ds_write_b64 v2, v[16:17] offset:1792
	s_waitcnt lgkmcnt(0)
	s_barrier
	s_and_saveexec_b64 s[4:5], s[2:3]
	s_cbranch_execz .LBB0_18
; %bb.17:
	ds_read_b64 v[14:15], v4
	ds_read_b64 v[18:19], v4 offset:2240
	ds_read_b64 v[20:21], v4 offset:4480
	;; [unrolled: 1-line block ×6, first 2 shown]
.LBB0_18:
	s_or_b64 exec, exec, s[4:5]
	v_mul_lo_u16_e32 v0, 0x67, v22
	v_lshrrev_b16_e32 v0, 12, v0
	v_mul_lo_u16_e32 v0, 40, v0
	v_sub_u16_e32 v0, v22, v0
	v_and_b32_e32 v0, 0xff, v0
	v_mul_u32_u24_e32 v2, 6, v0
	v_lshlrev_b32_e32 v2, 3, v2
	global_load_dwordx4 v[23:26], v2, s[20:21] offset:256
	global_load_dwordx4 v[27:30], v2, s[20:21] offset:272
	;; [unrolled: 1-line block ×3, first 2 shown]
	v_mov_b32_e32 v2, v12
	v_mov_b32_e32 v4, v13
	v_mul_lo_u32 v13, v5, v0
	v_add_u32_e32 v12, 40, v0
	v_mul_lo_u32 v35, v5, v12
	v_mov_b32_e32 v12, 3
	v_lshlrev_b32_sdwa v36, v12, v13 dst_sel:DWORD dst_unused:UNUSED_PAD src0_sel:DWORD src1_sel:BYTE_0
	v_lshlrev_b32_sdwa v13, v12, v13 dst_sel:DWORD dst_unused:UNUSED_PAD src0_sel:DWORD src1_sel:BYTE_1
	v_lshlrev_b32_sdwa v37, v12, v35 dst_sel:DWORD dst_unused:UNUSED_PAD src0_sel:DWORD src1_sel:BYTE_0
	v_lshlrev_b32_sdwa v35, v12, v35 dst_sel:DWORD dst_unused:UNUSED_PAD src0_sel:DWORD src1_sel:BYTE_1
	s_mov_b32 s4, 0x3f3bfb3b
	s_mov_b32 s5, 0xbf3bfb3b
	;; [unrolled: 1-line block ×3, first 2 shown]
	s_waitcnt vmcnt(2) lgkmcnt(5)
	v_mul_f32_e32 v38, v19, v24
	v_mul_f32_e32 v24, v18, v24
	s_waitcnt lgkmcnt(4)
	v_mul_f32_e32 v39, v21, v26
	v_mul_f32_e32 v26, v20, v26
	v_fmac_f32_e32 v38, v18, v23
	v_fma_f32 v40, v19, v23, -v24
	v_fmac_f32_e32 v39, v20, v25
	v_fma_f32 v41, v21, v25, -v26
	global_load_dwordx2 v[18:19], v36, s[16:17]
	global_load_dwordx2 v[20:21], v13, s[16:17] offset:2048
	global_load_dwordx2 v[23:24], v37, s[16:17]
	global_load_dwordx2 v[25:26], v35, s[16:17] offset:2048
	s_waitcnt vmcnt(5) lgkmcnt(3)
	v_mul_f32_e32 v13, v11, v28
	v_mul_f32_e32 v28, v10, v28
	s_waitcnt lgkmcnt(2)
	v_mul_f32_e32 v35, v17, v30
	v_mul_f32_e32 v30, v16, v30
	s_waitcnt vmcnt(4) lgkmcnt(1)
	v_mul_f32_e32 v36, v7, v32
	v_fmac_f32_e32 v13, v10, v27
	v_fma_f32 v10, v11, v27, -v28
	v_mul_f32_e32 v11, v6, v32
	s_waitcnt lgkmcnt(0)
	v_mul_f32_e32 v27, v9, v34
	v_fmac_f32_e32 v35, v16, v29
	v_fma_f32 v16, v17, v29, -v30
	v_mul_f32_e32 v17, v8, v34
	v_fmac_f32_e32 v36, v6, v31
	v_fma_f32 v6, v7, v31, -v11
	v_fmac_f32_e32 v27, v8, v33
	v_fma_f32 v7, v9, v33, -v17
	v_add_f32_e32 v8, v38, v27
	v_add_f32_e32 v9, v40, v7
	v_sub_f32_e32 v11, v38, v27
	v_add_f32_e32 v17, v39, v36
	v_add_f32_e32 v27, v41, v6
	v_sub_f32_e32 v28, v39, v36
	v_sub_f32_e32 v6, v41, v6
	v_add_f32_e32 v29, v13, v35
	v_add_f32_e32 v30, v10, v16
	v_sub_f32_e32 v13, v35, v13
	;; [unrolled: 4-line block ×3, first 2 shown]
	v_sub_f32_e32 v32, v17, v8
	v_sub_f32_e32 v8, v8, v29
	;; [unrolled: 1-line block ×3, first 2 shown]
	v_add_f32_e32 v34, v13, v28
	v_add_f32_e32 v35, v10, v6
	;; [unrolled: 1-line block ×4, first 2 shown]
	v_sub_f32_e32 v33, v27, v9
	v_sub_f32_e32 v9, v9, v30
	;; [unrolled: 1-line block ×9, first 2 shown]
	v_add_f32_e32 v11, v34, v11
	v_add_f32_e32 v7, v35, v7
	v_mul_f32_e32 v8, 0x3f4a47b2, v8
	v_mul_f32_e32 v30, 0x3d64c772, v17
	v_add_f32_e32 v34, v14, v16
	v_add_f32_e32 v35, v15, v29
	v_mul_f32_e32 v9, 0x3f4a47b2, v9
	v_mul_f32_e32 v31, 0x3d64c772, v27
	v_fma_f32 v14, v32, s4, -v30
	v_fma_f32 v15, v32, s5, -v8
	v_fmac_f32_e32 v8, 0x3d64c772, v17
	v_mov_b32_e32 v17, v34
	v_mov_b32_e32 v30, v35
	v_fmac_f32_e32 v17, 0xbf955555, v16
	v_fmac_f32_e32 v30, 0xbf955555, v29
	v_mul_f32_e32 v16, 0x3f08b237, v36
	v_mul_f32_e32 v29, 0x3f08b237, v37
	v_fma_f32 v31, v33, s4, -v31
	v_fma_f32 v32, v33, s5, -v9
	v_fmac_f32_e32 v9, 0x3d64c772, v27
	v_mul_f32_e32 v27, 0xbf5ff5aa, v28
	s_mov_b32 s4, 0x3eae86e6
	v_fma_f32 v28, v28, s10, -v16
	v_fmac_f32_e32 v16, 0xbeae86e6, v13
	v_fma_f32 v13, v13, s4, -v27
	v_mul_f32_e32 v27, 0xbf5ff5aa, v6
	v_fma_f32 v6, v6, s10, -v29
	v_fmac_f32_e32 v29, 0xbeae86e6, v10
	v_fma_f32 v10, v10, s4, -v27
	v_add_f32_e32 v14, v14, v17
	v_fmac_f32_e32 v6, 0xbee1c552, v7
	v_fmac_f32_e32 v29, 0xbee1c552, v7
	;; [unrolled: 1-line block ×3, first 2 shown]
	v_sub_f32_e32 v39, v14, v6
	v_add_f32_e32 v40, v6, v14
	v_add_u32_e32 v6, 0x50, v0
	v_add_u32_e32 v7, 0x78, v0
	v_fmac_f32_e32 v16, 0xbee1c552, v11
	v_fmac_f32_e32 v28, 0xbee1c552, v11
	;; [unrolled: 1-line block ×3, first 2 shown]
	v_mul_lo_u32 v6, v5, v6
	v_mul_lo_u32 v11, v5, v7
	v_add_f32_e32 v8, v8, v17
	v_add_f32_e32 v9, v9, v30
	;; [unrolled: 1-line block ×4, first 2 shown]
	v_sub_f32_e32 v36, v9, v16
	v_add_f32_e32 v37, v10, v15
	v_sub_f32_e32 v38, v17, v13
	v_sub_f32_e32 v43, v15, v10
	v_add_f32_e32 v44, v13, v17
	v_add_f32_e32 v46, v16, v9
	s_waitcnt vmcnt(2)
	v_mul_f32_e32 v15, v19, v21
	v_lshlrev_b32_sdwa v10, v12, v6 dst_sel:DWORD dst_unused:UNUSED_PAD src0_sel:DWORD src1_sel:BYTE_0
	v_lshlrev_b32_sdwa v13, v12, v6 dst_sel:DWORD dst_unused:UNUSED_PAD src0_sel:DWORD src1_sel:BYTE_1
	v_lshlrev_b32_sdwa v16, v12, v11 dst_sel:DWORD dst_unused:UNUSED_PAD src0_sel:DWORD src1_sel:BYTE_0
	v_add_f32_e32 v33, v29, v8
	v_sub_f32_e32 v45, v8, v29
	global_load_dwordx2 v[6:7], v10, s[16:17]
	global_load_dwordx2 v[8:9], v13, s[16:17] offset:2048
	v_lshlrev_b32_sdwa v17, v12, v11 dst_sel:DWORD dst_unused:UNUSED_PAD src0_sel:DWORD src1_sel:BYTE_1
	global_load_dwordx2 v[10:11], v16, s[16:17]
	global_load_dwordx2 v[13:14], v17, s[16:17] offset:2048
	v_fma_f32 v16, v18, v20, -v15
	v_add_u32_e32 v15, 0xa0, v0
	v_mul_lo_u32 v15, v5, v15
	v_mul_f32_e32 v17, v18, v21
	v_fmac_f32_e32 v17, v19, v20
	v_add_u32_e32 v19, 0xc8, v0
	v_mul_lo_u32 v29, v5, v19
	v_add_f32_e32 v27, v31, v30
	v_lshlrev_b32_sdwa v21, v12, v15 dst_sel:DWORD dst_unused:UNUSED_PAD src0_sel:DWORD src1_sel:BYTE_0
	v_add_u32_e32 v0, 0xf0, v0
	v_add_f32_e32 v41, v28, v27
	v_sub_f32_e32 v42, v27, v28
	v_lshlrev_b32_sdwa v15, v12, v15 dst_sel:DWORD dst_unused:UNUSED_PAD src0_sel:DWORD src1_sel:BYTE_1
	global_load_dwordx2 v[19:20], v21, s[16:17]
	global_load_dwordx2 v[27:28], v15, s[16:17] offset:2048
	v_mul_lo_u32 v0, v5, v0
	s_waitcnt vmcnt(6)
	v_mul_f32_e32 v18, v24, v26
	v_mul_f32_e32 v21, v23, v26
	v_lshlrev_b32_sdwa v15, v12, v29 dst_sel:DWORD dst_unused:UNUSED_PAD src0_sel:DWORD src1_sel:BYTE_0
	v_fma_f32 v18, v23, v25, -v18
	v_fmac_f32_e32 v21, v24, v25
	v_lshlrev_b32_sdwa v29, v12, v29 dst_sel:DWORD dst_unused:UNUSED_PAD src0_sel:DWORD src1_sel:BYTE_1
	global_load_dwordx2 v[23:24], v15, s[16:17]
	global_load_dwordx2 v[25:26], v29, s[16:17] offset:2048
	v_mul_f32_e32 v15, v35, v17
	v_mul_f32_e32 v5, v34, v17
	v_lshlrev_b32_sdwa v17, v12, v0 dst_sel:DWORD dst_unused:UNUSED_PAD src0_sel:DWORD src1_sel:BYTE_0
	v_lshlrev_b32_sdwa v0, v12, v0 dst_sel:DWORD dst_unused:UNUSED_PAD src0_sel:DWORD src1_sel:BYTE_1
	global_load_dwordx2 v[29:30], v17, s[16:17]
	global_load_dwordx2 v[31:32], v0, s[16:17] offset:2048
	v_mul_f32_e32 v17, v36, v21
	v_mul_f32_e32 v0, v33, v21
	v_fmac_f32_e32 v15, v34, v16
	v_fma_f32 v16, v35, v16, -v5
	v_fmac_f32_e32 v17, v33, v18
	v_fma_f32 v18, v36, v18, -v0
	s_and_b64 s[4:5], s[2:3], vcc
	s_waitcnt vmcnt(8)
	v_mul_f32_e32 v0, v7, v9
	v_mul_f32_e32 v5, v6, v9
	v_fma_f32 v0, v6, v8, -v0
	v_fmac_f32_e32 v5, v7, v8
	s_waitcnt vmcnt(6)
	v_mul_f32_e32 v6, v11, v14
	v_mul_f32_e32 v7, v10, v14
	v_fma_f32 v6, v10, v13, -v6
	v_fmac_f32_e32 v7, v11, v13
	v_mul_f32_e32 v13, v38, v5
	v_mul_f32_e32 v5, v37, v5
	v_fmac_f32_e32 v13, v37, v0
	v_fma_f32 v14, v38, v0, -v5
	v_mul_f32_e32 v0, v39, v7
	v_fma_f32 v12, v41, v6, -v0
	v_mul_f32_e32 v11, v41, v7
	v_fmac_f32_e32 v11, v39, v6
	s_waitcnt vmcnt(4)
	v_mul_f32_e32 v5, v19, v28
	v_mul_f32_e32 v0, v20, v28
	v_fmac_f32_e32 v5, v20, v27
	v_fma_f32 v0, v19, v27, -v0
	v_mul_f32_e32 v7, v42, v5
	v_mul_f32_e32 v5, v40, v5
	v_fma_f32 v8, v42, v0, -v5
	v_fmac_f32_e32 v7, v40, v0
	s_waitcnt vmcnt(2)
	v_mul_f32_e32 v5, v23, v26
	v_mul_f32_e32 v0, v24, v26
	v_fmac_f32_e32 v5, v24, v25
	v_fma_f32 v0, v23, v25, -v0
	v_mul_f32_e32 v9, v44, v5
	v_mul_f32_e32 v5, v43, v5
	s_waitcnt vmcnt(0)
	v_mul_f32_e32 v6, v29, v32
	v_fmac_f32_e32 v9, v43, v0
	v_fma_f32 v10, v44, v0, -v5
	v_mul_f32_e32 v0, v30, v32
	v_fmac_f32_e32 v6, v30, v31
	v_fma_f32 v0, v29, v31, -v0
	v_mul_f32_e32 v5, v46, v6
	v_mul_f32_e32 v6, v45, v6
	v_fmac_f32_e32 v5, v45, v0
	v_fma_f32 v6, v46, v0, -v6
	v_lshlrev_b64 v[19:20], 3, v[1:2]
	v_lshlrev_b64 v[0:1], 3, v[3:4]
	v_add_u32_e32 v2, 40, v22
	s_and_saveexec_b64 s[10:11], s[4:5]
	s_cbranch_execz .LBB0_20
; %bb.19:
	s_lshl_b64 s[4:5], s[6:7], 3
	s_add_u32 s4, s12, s4
	s_addc_u32 s5, s13, s5
	v_mov_b32_e32 v3, s5
	v_add_co_u32_e64 v28, s[4:5], s4, v19
	v_addc_co_u32_e64 v29, s[4:5], v3, v20, s[4:5]
	v_mad_u64_u32 v[3:4], s[4:5], s8, v2, 0
	v_add_co_u32_e64 v23, s[4:5], v28, v0
	v_addc_co_u32_e64 v24, s[4:5], v29, v1, s[4:5]
	v_mad_u64_u32 v[25:26], s[4:5], s9, v2, v[4:5]
	v_add_u32_e32 v30, 0x50, v22
	v_mad_u64_u32 v[26:27], s[4:5], s8, v30, 0
	global_store_dwordx2 v[23:24], v[15:16], off
	v_mov_b32_e32 v4, v25
	v_mov_b32_e32 v21, v27
	v_mad_u64_u32 v[23:24], s[4:5], s9, v30, v[21:22]
	v_lshlrev_b64 v[3:4], 3, v[3:4]
	v_add_u32_e32 v25, 0x78, v22
	v_add_co_u32_e64 v3, s[4:5], v28, v3
	v_addc_co_u32_e64 v4, s[4:5], v29, v4, s[4:5]
	v_mov_b32_e32 v27, v23
	v_mad_u64_u32 v[23:24], s[4:5], s8, v25, 0
	global_store_dwordx2 v[3:4], v[17:18], off
	v_lshlrev_b64 v[3:4], 3, v[26:27]
	v_mov_b32_e32 v21, v24
	v_add_co_u32_e64 v3, s[4:5], v28, v3
	v_addc_co_u32_e64 v4, s[4:5], v29, v4, s[4:5]
	v_mad_u64_u32 v[24:25], s[4:5], s9, v25, v[21:22]
	v_add_u32_e32 v27, 0xa0, v22
	v_mad_u64_u32 v[25:26], s[4:5], s8, v27, 0
	global_store_dwordx2 v[3:4], v[13:14], off
	v_lshlrev_b64 v[3:4], 3, v[23:24]
	v_mov_b32_e32 v21, v26
	v_mad_u64_u32 v[23:24], s[4:5], s9, v27, v[21:22]
	v_add_co_u32_e64 v3, s[4:5], v28, v3
	v_addc_co_u32_e64 v4, s[4:5], v29, v4, s[4:5]
	v_mov_b32_e32 v26, v23
	global_store_dwordx2 v[3:4], v[11:12], off
	v_lshlrev_b64 v[3:4], 3, v[25:26]
	v_add_u32_e32 v25, 0xc8, v22
	v_mad_u64_u32 v[23:24], s[4:5], s8, v25, 0
	v_add_co_u32_e64 v3, s[4:5], v28, v3
	v_mov_b32_e32 v21, v24
	v_addc_co_u32_e64 v4, s[4:5], v29, v4, s[4:5]
	v_mad_u64_u32 v[24:25], s[4:5], s9, v25, v[21:22]
	v_add_u32_e32 v27, 0xf0, v22
	v_mad_u64_u32 v[25:26], s[4:5], s8, v27, 0
	global_store_dwordx2 v[3:4], v[7:8], off
	v_lshlrev_b64 v[3:4], 3, v[23:24]
	v_mov_b32_e32 v21, v26
	v_mad_u64_u32 v[23:24], s[4:5], s9, v27, v[21:22]
	v_add_co_u32_e64 v3, s[4:5], v28, v3
	v_addc_co_u32_e64 v4, s[4:5], v29, v4, s[4:5]
	v_mov_b32_e32 v26, v23
	global_store_dwordx2 v[3:4], v[9:10], off
	v_lshlrev_b64 v[3:4], 3, v[25:26]
	v_add_co_u32_e64 v3, s[4:5], v28, v3
	v_addc_co_u32_e64 v4, s[4:5], v29, v4, s[4:5]
	global_store_dwordx2 v[3:4], v[5:6], off
.LBB0_20:
	s_or_b64 exec, exec, s[10:11]
	s_xor_b64 s[4:5], vcc, -1
	s_and_b64 s[0:1], s[2:3], s[0:1]
	s_and_b64 s[0:1], s[4:5], s[0:1]
	s_and_saveexec_b64 s[2:3], s[0:1]
	s_cbranch_execz .LBB0_22
; %bb.21:
	s_lshl_b64 s[0:1], s[6:7], 3
	s_add_u32 s0, s12, s0
	s_addc_u32 s1, s13, s1
	v_mov_b32_e32 v3, s1
	v_add_co_u32_e32 v23, vcc, s0, v19
	v_addc_co_u32_e32 v24, vcc, v3, v20, vcc
	v_mad_u64_u32 v[3:4], s[0:1], s8, v2, 0
	v_add_u32_e32 v25, 0x50, v22
	v_add_co_u32_e32 v0, vcc, v23, v0
	v_mad_u64_u32 v[19:20], s[0:1], s9, v2, v[4:5]
	v_mad_u64_u32 v[20:21], s[0:1], s8, v25, 0
	v_addc_co_u32_e32 v1, vcc, v24, v1, vcc
	v_mov_b32_e32 v4, v19
	v_mov_b32_e32 v2, v21
	global_store_dwordx2 v[0:1], v[15:16], off
	v_lshlrev_b64 v[0:1], 3, v[3:4]
	v_mad_u64_u32 v[2:3], s[0:1], s9, v25, v[2:3]
	v_add_u32_e32 v4, 0x78, v22
	v_add_co_u32_e32 v0, vcc, v23, v0
	v_mov_b32_e32 v21, v2
	v_mad_u64_u32 v[2:3], s[0:1], s8, v4, 0
	v_addc_co_u32_e32 v1, vcc, v24, v1, vcc
	v_mad_u64_u32 v[3:4], s[0:1], s9, v4, v[3:4]
	v_add_u32_e32 v4, 0xa0, v22
	global_store_dwordx2 v[0:1], v[17:18], off
	v_lshlrev_b64 v[0:1], 3, v[20:21]
	v_mad_u64_u32 v[15:16], s[0:1], s8, v4, 0
	v_add_co_u32_e32 v0, vcc, v23, v0
	v_addc_co_u32_e32 v1, vcc, v24, v1, vcc
	global_store_dwordx2 v[0:1], v[13:14], off
	v_lshlrev_b64 v[0:1], 3, v[2:3]
	v_mov_b32_e32 v2, v16
	v_mad_u64_u32 v[2:3], s[0:1], s9, v4, v[2:3]
	v_add_u32_e32 v4, 0xc8, v22
	v_add_co_u32_e32 v0, vcc, v23, v0
	v_mov_b32_e32 v16, v2
	v_mad_u64_u32 v[2:3], s[0:1], s8, v4, 0
	v_addc_co_u32_e32 v1, vcc, v24, v1, vcc
	v_mad_u64_u32 v[3:4], s[0:1], s9, v4, v[3:4]
	v_add_u32_e32 v4, 0xf0, v22
	global_store_dwordx2 v[0:1], v[11:12], off
	v_lshlrev_b64 v[0:1], 3, v[15:16]
	v_mad_u64_u32 v[11:12], s[0:1], s8, v4, 0
	v_add_co_u32_e32 v0, vcc, v23, v0
	v_addc_co_u32_e32 v1, vcc, v24, v1, vcc
	global_store_dwordx2 v[0:1], v[7:8], off
	v_lshlrev_b64 v[0:1], 3, v[2:3]
	v_mov_b32_e32 v2, v12
	v_mad_u64_u32 v[2:3], s[0:1], s9, v4, v[2:3]
	v_add_co_u32_e32 v0, vcc, v23, v0
	v_addc_co_u32_e32 v1, vcc, v24, v1, vcc
	v_mov_b32_e32 v12, v2
	global_store_dwordx2 v[0:1], v[9:10], off
	v_lshlrev_b64 v[0:1], 3, v[11:12]
	v_add_co_u32_e32 v0, vcc, v23, v0
	v_addc_co_u32_e32 v1, vcc, v24, v1, vcc
	global_store_dwordx2 v[0:1], v[5:6], off
.LBB0_22:
	s_endpgm
	.section	.rodata,"a",@progbits
	.p2align	6, 0x0
	.amdhsa_kernel fft_rtc_back_len280_factors_8_5_7_wgs_392_tpt_56_sp_ip_CI_sbcc_twdbase8_2step_dirReg_intrinsicRead
		.amdhsa_group_segment_fixed_size 0
		.amdhsa_private_segment_fixed_size 0
		.amdhsa_kernarg_size 96
		.amdhsa_user_sgpr_count 6
		.amdhsa_user_sgpr_private_segment_buffer 1
		.amdhsa_user_sgpr_dispatch_ptr 0
		.amdhsa_user_sgpr_queue_ptr 0
		.amdhsa_user_sgpr_kernarg_segment_ptr 1
		.amdhsa_user_sgpr_dispatch_id 0
		.amdhsa_user_sgpr_flat_scratch_init 0
		.amdhsa_user_sgpr_private_segment_size 0
		.amdhsa_uses_dynamic_stack 0
		.amdhsa_system_sgpr_private_segment_wavefront_offset 0
		.amdhsa_system_sgpr_workgroup_id_x 1
		.amdhsa_system_sgpr_workgroup_id_y 0
		.amdhsa_system_sgpr_workgroup_id_z 0
		.amdhsa_system_sgpr_workgroup_info 0
		.amdhsa_system_vgpr_workitem_id 0
		.amdhsa_next_free_vgpr 47
		.amdhsa_next_free_sgpr 45
		.amdhsa_reserve_vcc 1
		.amdhsa_reserve_flat_scratch 0
		.amdhsa_float_round_mode_32 0
		.amdhsa_float_round_mode_16_64 0
		.amdhsa_float_denorm_mode_32 3
		.amdhsa_float_denorm_mode_16_64 3
		.amdhsa_dx10_clamp 1
		.amdhsa_ieee_mode 1
		.amdhsa_fp16_overflow 0
		.amdhsa_exception_fp_ieee_invalid_op 0
		.amdhsa_exception_fp_denorm_src 0
		.amdhsa_exception_fp_ieee_div_zero 0
		.amdhsa_exception_fp_ieee_overflow 0
		.amdhsa_exception_fp_ieee_underflow 0
		.amdhsa_exception_fp_ieee_inexact 0
		.amdhsa_exception_int_div_zero 0
	.end_amdhsa_kernel
	.text
.Lfunc_end0:
	.size	fft_rtc_back_len280_factors_8_5_7_wgs_392_tpt_56_sp_ip_CI_sbcc_twdbase8_2step_dirReg_intrinsicRead, .Lfunc_end0-fft_rtc_back_len280_factors_8_5_7_wgs_392_tpt_56_sp_ip_CI_sbcc_twdbase8_2step_dirReg_intrinsicRead
                                        ; -- End function
	.section	.AMDGPU.csdata,"",@progbits
; Kernel info:
; codeLenInByte = 5224
; NumSgprs: 49
; NumVgprs: 47
; ScratchSize: 0
; MemoryBound: 0
; FloatMode: 240
; IeeeMode: 1
; LDSByteSize: 0 bytes/workgroup (compile time only)
; SGPRBlocks: 6
; VGPRBlocks: 11
; NumSGPRsForWavesPerEU: 49
; NumVGPRsForWavesPerEU: 47
; Occupancy: 5
; WaveLimiterHint : 1
; COMPUTE_PGM_RSRC2:SCRATCH_EN: 0
; COMPUTE_PGM_RSRC2:USER_SGPR: 6
; COMPUTE_PGM_RSRC2:TRAP_HANDLER: 0
; COMPUTE_PGM_RSRC2:TGID_X_EN: 1
; COMPUTE_PGM_RSRC2:TGID_Y_EN: 0
; COMPUTE_PGM_RSRC2:TGID_Z_EN: 0
; COMPUTE_PGM_RSRC2:TIDIG_COMP_CNT: 0
	.type	__hip_cuid_c59071567b02d316,@object ; @__hip_cuid_c59071567b02d316
	.section	.bss,"aw",@nobits
	.globl	__hip_cuid_c59071567b02d316
__hip_cuid_c59071567b02d316:
	.byte	0                               ; 0x0
	.size	__hip_cuid_c59071567b02d316, 1

	.ident	"AMD clang version 19.0.0git (https://github.com/RadeonOpenCompute/llvm-project roc-6.4.0 25133 c7fe45cf4b819c5991fe208aaa96edf142730f1d)"
	.section	".note.GNU-stack","",@progbits
	.addrsig
	.addrsig_sym __hip_cuid_c59071567b02d316
	.amdgpu_metadata
---
amdhsa.kernels:
  - .args:
      - .actual_access:  read_only
        .address_space:  global
        .offset:         0
        .size:           8
        .value_kind:     global_buffer
      - .address_space:  global
        .offset:         8
        .size:           8
        .value_kind:     global_buffer
      - .offset:         16
        .size:           8
        .value_kind:     by_value
      - .actual_access:  read_only
        .address_space:  global
        .offset:         24
        .size:           8
        .value_kind:     global_buffer
      - .actual_access:  read_only
        .address_space:  global
        .offset:         32
        .size:           8
        .value_kind:     global_buffer
      - .offset:         40
        .size:           8
        .value_kind:     by_value
      - .actual_access:  read_only
        .address_space:  global
        .offset:         48
        .size:           8
        .value_kind:     global_buffer
      - .actual_access:  read_only
        .address_space:  global
        .offset:         56
        .size:           8
        .value_kind:     global_buffer
      - .offset:         64
        .size:           4
        .value_kind:     by_value
      - .actual_access:  read_only
        .address_space:  global
        .offset:         72
        .size:           8
        .value_kind:     global_buffer
      - .actual_access:  read_only
        .address_space:  global
        .offset:         80
        .size:           8
        .value_kind:     global_buffer
      - .address_space:  global
        .offset:         88
        .size:           8
        .value_kind:     global_buffer
    .group_segment_fixed_size: 0
    .kernarg_segment_align: 8
    .kernarg_segment_size: 96
    .language:       OpenCL C
    .language_version:
      - 2
      - 0
    .max_flat_workgroup_size: 392
    .name:           fft_rtc_back_len280_factors_8_5_7_wgs_392_tpt_56_sp_ip_CI_sbcc_twdbase8_2step_dirReg_intrinsicRead
    .private_segment_fixed_size: 0
    .sgpr_count:     49
    .sgpr_spill_count: 0
    .symbol:         fft_rtc_back_len280_factors_8_5_7_wgs_392_tpt_56_sp_ip_CI_sbcc_twdbase8_2step_dirReg_intrinsicRead.kd
    .uniform_work_group_size: 1
    .uses_dynamic_stack: false
    .vgpr_count:     47
    .vgpr_spill_count: 0
    .wavefront_size: 64
amdhsa.target:   amdgcn-amd-amdhsa--gfx906
amdhsa.version:
  - 1
  - 2
...

	.end_amdgpu_metadata
